;; amdgpu-corpus repo=ROCm/rocFFT kind=compiled arch=gfx1030 opt=O3
	.text
	.amdgcn_target "amdgcn-amd-amdhsa--gfx1030"
	.amdhsa_code_object_version 6
	.protected	fft_rtc_back_len208_factors_13_16_wgs_64_tpt_16_halfLds_dp_ip_CI_unitstride_sbrr_dirReg ; -- Begin function fft_rtc_back_len208_factors_13_16_wgs_64_tpt_16_halfLds_dp_ip_CI_unitstride_sbrr_dirReg
	.globl	fft_rtc_back_len208_factors_13_16_wgs_64_tpt_16_halfLds_dp_ip_CI_unitstride_sbrr_dirReg
	.p2align	8
	.type	fft_rtc_back_len208_factors_13_16_wgs_64_tpt_16_halfLds_dp_ip_CI_unitstride_sbrr_dirReg,@function
fft_rtc_back_len208_factors_13_16_wgs_64_tpt_16_halfLds_dp_ip_CI_unitstride_sbrr_dirReg: ; @fft_rtc_back_len208_factors_13_16_wgs_64_tpt_16_halfLds_dp_ip_CI_unitstride_sbrr_dirReg
; %bb.0:
	s_clause 0x2
	s_load_dwordx4 s[8:11], s[4:5], 0x0
	s_load_dwordx2 s[2:3], s[4:5], 0x50
	s_load_dwordx2 s[12:13], s[4:5], 0x18
	v_lshrrev_b32_e32 v56, 4, v0
	v_mov_b32_e32 v3, 0
	v_mov_b32_e32 v1, 0
	;; [unrolled: 1-line block ×3, first 2 shown]
	v_lshl_or_b32 v5, s6, 2, v56
	v_mov_b32_e32 v6, v3
	s_waitcnt lgkmcnt(0)
	v_cmp_lt_u64_e64 s0, s[10:11], 2
	s_and_b32 vcc_lo, exec_lo, s0
	s_cbranch_vccnz .LBB0_8
; %bb.1:
	s_load_dwordx2 s[0:1], s[4:5], 0x10
	v_mov_b32_e32 v1, 0
	s_add_u32 s6, s12, 8
	v_mov_b32_e32 v2, 0
	s_addc_u32 s7, s13, 0
	s_mov_b64 s[16:17], 1
	s_waitcnt lgkmcnt(0)
	s_add_u32 s14, s0, 8
	s_addc_u32 s15, s1, 0
.LBB0_2:                                ; =>This Inner Loop Header: Depth=1
	s_load_dwordx2 s[18:19], s[14:15], 0x0
                                        ; implicit-def: $vgpr7_vgpr8
	s_mov_b32 s0, exec_lo
	s_waitcnt lgkmcnt(0)
	v_or_b32_e32 v4, s19, v6
	v_cmpx_ne_u64_e32 0, v[3:4]
	s_xor_b32 s1, exec_lo, s0
	s_cbranch_execz .LBB0_4
; %bb.3:                                ;   in Loop: Header=BB0_2 Depth=1
	v_cvt_f32_u32_e32 v4, s18
	v_cvt_f32_u32_e32 v7, s19
	s_sub_u32 s0, 0, s18
	s_subb_u32 s20, 0, s19
	v_fmac_f32_e32 v4, 0x4f800000, v7
	v_rcp_f32_e32 v4, v4
	v_mul_f32_e32 v4, 0x5f7ffffc, v4
	v_mul_f32_e32 v7, 0x2f800000, v4
	v_trunc_f32_e32 v7, v7
	v_fmac_f32_e32 v4, 0xcf800000, v7
	v_cvt_u32_f32_e32 v7, v7
	v_cvt_u32_f32_e32 v4, v4
	v_mul_lo_u32 v8, s0, v7
	v_mul_hi_u32 v9, s0, v4
	v_mul_lo_u32 v10, s20, v4
	v_add_nc_u32_e32 v8, v9, v8
	v_mul_lo_u32 v9, s0, v4
	v_add_nc_u32_e32 v8, v8, v10
	v_mul_hi_u32 v10, v4, v9
	v_mul_lo_u32 v11, v4, v8
	v_mul_hi_u32 v12, v4, v8
	v_mul_hi_u32 v13, v7, v9
	v_mul_lo_u32 v9, v7, v9
	v_mul_hi_u32 v14, v7, v8
	v_mul_lo_u32 v8, v7, v8
	v_add_co_u32 v10, vcc_lo, v10, v11
	v_add_co_ci_u32_e32 v11, vcc_lo, 0, v12, vcc_lo
	v_add_co_u32 v9, vcc_lo, v10, v9
	v_add_co_ci_u32_e32 v9, vcc_lo, v11, v13, vcc_lo
	v_add_co_ci_u32_e32 v10, vcc_lo, 0, v14, vcc_lo
	v_add_co_u32 v8, vcc_lo, v9, v8
	v_add_co_ci_u32_e32 v9, vcc_lo, 0, v10, vcc_lo
	v_add_co_u32 v4, vcc_lo, v4, v8
	v_add_co_ci_u32_e32 v7, vcc_lo, v7, v9, vcc_lo
	v_mul_hi_u32 v8, s0, v4
	v_mul_lo_u32 v10, s20, v4
	v_mul_lo_u32 v9, s0, v7
	v_add_nc_u32_e32 v8, v8, v9
	v_mul_lo_u32 v9, s0, v4
	v_add_nc_u32_e32 v8, v8, v10
	v_mul_hi_u32 v10, v4, v9
	v_mul_lo_u32 v11, v4, v8
	v_mul_hi_u32 v12, v4, v8
	v_mul_hi_u32 v13, v7, v9
	v_mul_lo_u32 v9, v7, v9
	v_mul_hi_u32 v14, v7, v8
	v_mul_lo_u32 v8, v7, v8
	v_add_co_u32 v10, vcc_lo, v10, v11
	v_add_co_ci_u32_e32 v11, vcc_lo, 0, v12, vcc_lo
	v_add_co_u32 v9, vcc_lo, v10, v9
	v_add_co_ci_u32_e32 v9, vcc_lo, v11, v13, vcc_lo
	v_add_co_ci_u32_e32 v10, vcc_lo, 0, v14, vcc_lo
	v_add_co_u32 v8, vcc_lo, v9, v8
	v_add_co_ci_u32_e32 v9, vcc_lo, 0, v10, vcc_lo
	v_add_co_u32 v4, vcc_lo, v4, v8
	v_add_co_ci_u32_e32 v11, vcc_lo, v7, v9, vcc_lo
	v_mul_hi_u32 v13, v5, v4
	v_mad_u64_u32 v[9:10], null, v6, v4, 0
	v_mad_u64_u32 v[7:8], null, v5, v11, 0
	;; [unrolled: 1-line block ×3, first 2 shown]
	v_add_co_u32 v4, vcc_lo, v13, v7
	v_add_co_ci_u32_e32 v7, vcc_lo, 0, v8, vcc_lo
	v_add_co_u32 v4, vcc_lo, v4, v9
	v_add_co_ci_u32_e32 v4, vcc_lo, v7, v10, vcc_lo
	v_add_co_ci_u32_e32 v7, vcc_lo, 0, v12, vcc_lo
	v_add_co_u32 v4, vcc_lo, v4, v11
	v_add_co_ci_u32_e32 v9, vcc_lo, 0, v7, vcc_lo
	v_mul_lo_u32 v10, s19, v4
	v_mad_u64_u32 v[7:8], null, s18, v4, 0
	v_mul_lo_u32 v11, s18, v9
	v_sub_co_u32 v7, vcc_lo, v5, v7
	v_add3_u32 v8, v8, v11, v10
	v_sub_nc_u32_e32 v10, v6, v8
	v_subrev_co_ci_u32_e64 v10, s0, s19, v10, vcc_lo
	v_add_co_u32 v11, s0, v4, 2
	v_add_co_ci_u32_e64 v12, s0, 0, v9, s0
	v_sub_co_u32 v13, s0, v7, s18
	v_sub_co_ci_u32_e32 v8, vcc_lo, v6, v8, vcc_lo
	v_subrev_co_ci_u32_e64 v10, s0, 0, v10, s0
	v_cmp_le_u32_e32 vcc_lo, s18, v13
	v_cmp_eq_u32_e64 s0, s19, v8
	v_cndmask_b32_e64 v13, 0, -1, vcc_lo
	v_cmp_le_u32_e32 vcc_lo, s19, v10
	v_cndmask_b32_e64 v14, 0, -1, vcc_lo
	v_cmp_le_u32_e32 vcc_lo, s18, v7
	;; [unrolled: 2-line block ×3, first 2 shown]
	v_cndmask_b32_e64 v15, 0, -1, vcc_lo
	v_cmp_eq_u32_e32 vcc_lo, s19, v10
	v_cndmask_b32_e64 v7, v15, v7, s0
	v_cndmask_b32_e32 v10, v14, v13, vcc_lo
	v_add_co_u32 v13, vcc_lo, v4, 1
	v_add_co_ci_u32_e32 v14, vcc_lo, 0, v9, vcc_lo
	v_cmp_ne_u32_e32 vcc_lo, 0, v10
	v_cndmask_b32_e32 v8, v14, v12, vcc_lo
	v_cndmask_b32_e32 v10, v13, v11, vcc_lo
	v_cmp_ne_u32_e32 vcc_lo, 0, v7
	v_cndmask_b32_e32 v8, v9, v8, vcc_lo
	v_cndmask_b32_e32 v7, v4, v10, vcc_lo
.LBB0_4:                                ;   in Loop: Header=BB0_2 Depth=1
	s_andn2_saveexec_b32 s0, s1
	s_cbranch_execz .LBB0_6
; %bb.5:                                ;   in Loop: Header=BB0_2 Depth=1
	v_cvt_f32_u32_e32 v4, s18
	s_sub_i32 s1, 0, s18
	v_rcp_iflag_f32_e32 v4, v4
	v_mul_f32_e32 v4, 0x4f7ffffe, v4
	v_cvt_u32_f32_e32 v4, v4
	v_mul_lo_u32 v7, s1, v4
	v_mul_hi_u32 v7, v4, v7
	v_add_nc_u32_e32 v4, v4, v7
	v_mul_hi_u32 v4, v5, v4
	v_mul_lo_u32 v7, v4, s18
	v_add_nc_u32_e32 v8, 1, v4
	v_sub_nc_u32_e32 v7, v5, v7
	v_subrev_nc_u32_e32 v9, s18, v7
	v_cmp_le_u32_e32 vcc_lo, s18, v7
	v_cndmask_b32_e32 v7, v7, v9, vcc_lo
	v_cndmask_b32_e32 v4, v4, v8, vcc_lo
	v_cmp_le_u32_e32 vcc_lo, s18, v7
	v_add_nc_u32_e32 v8, 1, v4
	v_cndmask_b32_e32 v7, v4, v8, vcc_lo
	v_mov_b32_e32 v8, v3
.LBB0_6:                                ;   in Loop: Header=BB0_2 Depth=1
	s_or_b32 exec_lo, exec_lo, s0
	s_load_dwordx2 s[0:1], s[6:7], 0x0
	v_mul_lo_u32 v4, v8, s18
	v_mul_lo_u32 v11, v7, s19
	v_mad_u64_u32 v[9:10], null, v7, s18, 0
	s_add_u32 s16, s16, 1
	s_addc_u32 s17, s17, 0
	s_add_u32 s6, s6, 8
	s_addc_u32 s7, s7, 0
	;; [unrolled: 2-line block ×3, first 2 shown]
	v_add3_u32 v4, v10, v11, v4
	v_sub_co_u32 v5, vcc_lo, v5, v9
	v_sub_co_ci_u32_e32 v4, vcc_lo, v6, v4, vcc_lo
	s_waitcnt lgkmcnt(0)
	v_mul_lo_u32 v6, s1, v5
	v_mul_lo_u32 v4, s0, v4
	v_mad_u64_u32 v[1:2], null, s0, v5, v[1:2]
	v_cmp_ge_u64_e64 s0, s[16:17], s[10:11]
	s_and_b32 vcc_lo, exec_lo, s0
	v_add3_u32 v2, v6, v2, v4
	s_cbranch_vccnz .LBB0_9
; %bb.7:                                ;   in Loop: Header=BB0_2 Depth=1
	v_mov_b32_e32 v5, v7
	v_mov_b32_e32 v6, v8
	s_branch .LBB0_2
.LBB0_8:
	v_mov_b32_e32 v8, v6
	v_mov_b32_e32 v7, v5
.LBB0_9:
	s_lshl_b64 s[0:1], s[10:11], 3
	v_and_b32_e32 v87, 15, v0
	s_add_u32 s0, s12, s0
	s_addc_u32 s1, s13, s1
                                        ; implicit-def: $vgpr54_vgpr55
                                        ; implicit-def: $vgpr46_vgpr47
                                        ; implicit-def: $vgpr42_vgpr43
                                        ; implicit-def: $vgpr38_vgpr39
                                        ; implicit-def: $vgpr18_vgpr19
                                        ; implicit-def: $vgpr14_vgpr15
                                        ; implicit-def: $vgpr34_vgpr35
                                        ; implicit-def: $vgpr22_vgpr23
                                        ; implicit-def: $vgpr10_vgpr11
                                        ; implicit-def: $vgpr30_vgpr31
                                        ; implicit-def: $vgpr26_vgpr27
	s_load_dwordx2 s[0:1], s[0:1], 0x0
	s_load_dwordx2 s[4:5], s[4:5], 0x20
	v_lshlrev_b32_e32 v86, 4, v87
	s_waitcnt lgkmcnt(0)
	v_mul_lo_u32 v3, s0, v8
	v_mul_lo_u32 v4, s1, v7
	v_mad_u64_u32 v[1:2], null, s0, v7, v[1:2]
	v_cmp_gt_u64_e32 vcc_lo, s[4:5], v[7:8]
                                        ; implicit-def: $vgpr6_vgpr7
	v_add3_u32 v2, v4, v2, v3
	v_lshlrev_b64 v[60:61], 4, v[1:2]
                                        ; implicit-def: $vgpr2_vgpr3
	s_and_saveexec_b32 s1, vcc_lo
	s_cbranch_execz .LBB0_11
; %bb.10:
	v_add_co_u32 v20, s0, s2, v60
	v_add_co_ci_u32_e64 v21, s0, s3, v61, s0
	v_or_b32_e32 v6, 0x800, v86
	v_add_co_u32 v4, s0, v20, v86
	v_add_co_ci_u32_e64 v5, s0, 0, v21, s0
	v_or_b32_e32 v7, 0x900, v86
	v_or_b32_e32 v8, 0xa00, v86
	;; [unrolled: 1-line block ×3, first 2 shown]
	s_clause 0x7
	global_load_dwordx4 v[0:3], v[4:5], off
	global_load_dwordx4 v[52:55], v[4:5], off offset:256
	global_load_dwordx4 v[44:47], v[4:5], off offset:512
	;; [unrolled: 1-line block ×7, first 2 shown]
	v_add_co_u32 v4, s0, v20, v6
	v_add_co_ci_u32_e64 v5, s0, 0, v21, s0
	v_add_co_u32 v6, s0, v20, v7
	v_add_co_ci_u32_e64 v7, s0, 0, v21, s0
	v_add_co_u32 v8, s0, v20, v8
	v_or_b32_e32 v22, 0xc00, v86
	v_add_co_ci_u32_e64 v9, s0, 0, v21, s0
	v_add_co_u32 v10, s0, v20, v10
	v_add_co_ci_u32_e64 v11, s0, 0, v21, s0
	v_add_co_u32 v48, s0, v20, v22
	v_add_co_ci_u32_e64 v49, s0, 0, v21, s0
	s_clause 0x4
	global_load_dwordx4 v[32:35], v[4:5], off
	global_load_dwordx4 v[28:31], v[6:7], off
	;; [unrolled: 1-line block ×5, first 2 shown]
.LBB0_11:
	s_or_b32 exec_lo, exec_lo, s1
	s_waitcnt vmcnt(11)
	v_add_f64 v[50:51], v[52:53], v[0:1]
	s_waitcnt vmcnt(0)
	v_add_f64 v[48:49], v[54:55], -v[6:7]
	s_mov_b32 s14, 0x4267c47c
	s_mov_b32 s10, 0x42a4c3d2
	;; [unrolled: 1-line block ×6, first 2 shown]
	v_add_f64 v[57:58], v[46:47], -v[10:11]
	v_add_f64 v[62:63], v[52:53], v[4:5]
	s_mov_b32 s4, 0xe00740e9
	s_mov_b32 s6, 0x1ea71119
	;; [unrolled: 1-line block ×12, first 2 shown]
	v_add_f64 v[50:51], v[44:45], v[50:51]
	v_mul_f64 v[64:65], v[48:49], s[14:15]
	v_mul_f64 v[66:67], v[48:49], s[10:11]
	;; [unrolled: 1-line block ×4, first 2 shown]
	v_add_f64 v[72:73], v[44:45], v[8:9]
	v_mul_f64 v[74:75], v[48:49], s[28:29]
	v_mul_f64 v[48:49], v[48:49], s[30:31]
	v_add_f64 v[76:77], v[42:43], -v[22:23]
	v_mul_f64 v[78:79], v[57:58], s[10:11]
	v_mul_f64 v[84:85], v[57:58], s[24:25]
	;; [unrolled: 1-line block ×3, first 2 shown]
	s_mov_b32 s18, 0xb2365da1
	s_mov_b32 s20, 0xd0032e0c
	;; [unrolled: 1-line block ×10, first 2 shown]
	v_add_f64 v[50:51], v[40:41], v[50:51]
	v_fma_f64 v[80:81], v[62:63], s[4:5], v[64:65]
	v_fma_f64 v[64:65], v[62:63], s[4:5], -v[64:65]
	v_fma_f64 v[82:83], v[62:63], s[6:7], v[66:67]
	v_fma_f64 v[66:67], v[62:63], s[6:7], -v[66:67]
	v_fma_f64 v[88:89], v[62:63], s[16:17], v[68:69]
	s_mov_b32 s26, s12
	s_mov_b32 s34, s14
	v_fma_f64 v[68:69], v[62:63], s[16:17], -v[68:69]
	v_fma_f64 v[92:93], v[62:63], s[18:19], v[70:71]
	v_mul_f64 v[94:95], v[57:58], s[38:39]
	v_mul_f64 v[96:97], v[57:58], s[26:27]
	v_fma_f64 v[70:71], v[62:63], s[18:19], -v[70:71]
	v_fma_f64 v[98:99], v[62:63], s[20:21], v[74:75]
	v_mul_f64 v[57:58], v[57:58], s[34:35]
	v_fma_f64 v[74:75], v[62:63], s[20:21], -v[74:75]
	v_fma_f64 v[100:101], v[62:63], s[22:23], v[48:49]
	v_fma_f64 v[48:49], v[62:63], s[22:23], -v[48:49]
	v_fma_f64 v[62:63], v[72:73], s[6:7], v[78:79]
	;; [unrolled: 2-line block ×3, first 2 shown]
	v_fma_f64 v[84:85], v[72:73], s[18:19], -v[84:85]
	v_add_f64 v[50:51], v[36:37], v[50:51]
	v_add_f64 v[80:81], v[80:81], v[0:1]
	;; [unrolled: 1-line block ×6, first 2 shown]
	v_fma_f64 v[104:105], v[72:73], s[22:23], v[90:91]
	v_mul_f64 v[110:111], v[76:77], s[12:13]
	v_add_f64 v[112:113], v[40:41], v[20:21]
	s_mov_b32 s43, 0x3fedeba7
	s_mov_b32 s42, s24
	v_fma_f64 v[90:91], v[72:73], s[22:23], -v[90:91]
	v_add_f64 v[68:69], v[68:69], v[0:1]
	v_add_f64 v[92:93], v[92:93], v[0:1]
	v_fma_f64 v[106:107], v[72:73], s[20:21], v[94:95]
	v_fma_f64 v[94:95], v[72:73], s[20:21], -v[94:95]
	v_add_f64 v[70:71], v[70:71], v[0:1]
	v_add_f64 v[98:99], v[98:99], v[0:1]
	v_fma_f64 v[108:109], v[72:73], s[16:17], v[96:97]
	v_fma_f64 v[96:97], v[72:73], s[16:17], -v[96:97]
	v_add_f64 v[74:75], v[74:75], v[0:1]
	v_add_f64 v[100:101], v[100:101], v[0:1]
	;; [unrolled: 1-line block ×3, first 2 shown]
	v_fma_f64 v[114:115], v[72:73], s[4:5], v[57:58]
	v_fma_f64 v[57:58], v[72:73], s[4:5], -v[57:58]
	v_add_f64 v[0:1], v[48:49], v[0:1]
	v_mul_f64 v[48:49], v[76:77], s[30:31]
	v_mul_f64 v[72:73], v[76:77], s[42:43]
	v_add_f64 v[62:63], v[62:63], v[80:81]
	v_mul_f64 v[80:81], v[76:77], s[34:35]
	v_add_f64 v[64:65], v[78:79], v[64:65]
	;; [unrolled: 2-line block ×3, first 2 shown]
	v_mul_f64 v[76:77], v[76:77], s[28:29]
	v_add_f64 v[102:103], v[38:39], -v[30:31]
	v_add_f64 v[66:67], v[84:85], v[66:67]
	v_add_f64 v[84:85], v[104:105], v[88:89]
	v_fma_f64 v[88:89], v[112:113], s[16:17], v[110:111]
	v_fma_f64 v[104:105], v[112:113], s[16:17], -v[110:111]
	v_add_f64 v[68:69], v[90:91], v[68:69]
	v_add_f64 v[90:91], v[106:107], v[92:93]
	;; [unrolled: 1-line block ×9, first 2 shown]
	v_fma_f64 v[57:58], v[112:113], s[22:23], v[48:49]
	v_fma_f64 v[48:49], v[112:113], s[22:23], -v[48:49]
	v_fma_f64 v[96:97], v[112:113], s[18:19], v[72:73]
	v_fma_f64 v[72:73], v[112:113], s[18:19], -v[72:73]
	;; [unrolled: 2-line block ×4, first 2 shown]
	v_fma_f64 v[106:107], v[112:113], s[20:21], v[76:77]
	v_mul_f64 v[108:109], v[102:103], s[24:25]
	v_fma_f64 v[76:77], v[112:113], s[20:21], -v[76:77]
	v_add_f64 v[62:63], v[88:89], v[62:63]
	v_add_f64 v[64:65], v[104:105], v[64:65]
	v_mul_f64 v[88:89], v[102:103], s[38:39]
	v_mul_f64 v[104:105], v[102:103], s[34:35]
	s_mov_b32 s41, 0x3fcea1e5
	s_mov_b32 s40, s30
	;; [unrolled: 1-line block ×3, first 2 shown]
	v_add_f64 v[50:51], v[12:13], v[50:51]
	s_mov_b32 s36, s10
	v_mul_f64 v[112:113], v[102:103], s[12:13]
	v_mul_f64 v[114:115], v[102:103], s[40:41]
	v_add_f64 v[57:58], v[57:58], v[82:83]
	v_mul_f64 v[82:83], v[102:103], s[36:37]
	v_add_f64 v[48:49], v[48:49], v[66:67]
	v_add_f64 v[66:67], v[18:19], -v[34:35]
	v_add_f64 v[84:85], v[96:97], v[84:85]
	v_add_f64 v[68:69], v[72:73], v[68:69]
	;; [unrolled: 1-line block ×5, first 2 shown]
	v_fma_f64 v[90:91], v[110:111], s[18:19], v[108:109]
	v_add_f64 v[74:75], v[78:79], v[74:75]
	v_fma_f64 v[78:79], v[110:111], s[18:19], -v[108:109]
	v_add_f64 v[92:93], v[106:107], v[94:95]
	v_fma_f64 v[94:95], v[110:111], s[20:21], v[88:89]
	v_add_f64 v[0:1], v[76:77], v[0:1]
	v_fma_f64 v[76:77], v[110:111], s[20:21], -v[88:89]
	v_fma_f64 v[88:89], v[110:111], s[4:5], v[104:105]
	v_fma_f64 v[96:97], v[110:111], s[4:5], -v[104:105]
	v_add_f64 v[50:51], v[32:33], v[50:51]
	v_cmp_gt_u32_e64 s0, 13, v87
	v_fma_f64 v[98:99], v[110:111], s[16:17], v[112:113]
	v_fma_f64 v[100:101], v[110:111], s[16:17], -v[112:113]
	v_fma_f64 v[102:103], v[110:111], s[22:23], v[114:115]
	v_fma_f64 v[104:105], v[110:111], s[22:23], -v[114:115]
	;; [unrolled: 2-line block ×3, first 2 shown]
	v_mul_f64 v[108:109], v[66:67], s[28:29]
	v_add_f64 v[110:111], v[16:17], v[32:33]
	v_mul_f64 v[112:113], v[66:67], s[26:27]
	v_mul_f64 v[114:115], v[66:67], s[10:11]
	v_add_f64 v[62:63], v[90:91], v[62:63]
	v_mul_f64 v[90:91], v[66:67], s[40:41]
	v_add_f64 v[64:65], v[78:79], v[64:65]
	v_mul_f64 v[78:79], v[66:67], s[34:35]
	v_mul_f64 v[66:67], v[66:67], s[24:25]
	v_add_f64 v[57:58], v[94:95], v[57:58]
	v_add_f64 v[48:49], v[76:77], v[48:49]
	;; [unrolled: 1-line block ×3, first 2 shown]
	v_add_f64 v[84:85], v[26:27], -v[14:15]
	v_add_f64 v[50:51], v[28:29], v[50:51]
	v_add_f64 v[68:69], v[96:97], v[68:69]
	;; [unrolled: 1-line block ×8, first 2 shown]
	v_fma_f64 v[82:83], v[110:111], s[20:21], v[108:109]
	v_fma_f64 v[92:93], v[110:111], s[20:21], -v[108:109]
	v_fma_f64 v[94:95], v[110:111], s[16:17], v[112:113]
	v_fma_f64 v[96:97], v[110:111], s[16:17], -v[112:113]
	;; [unrolled: 2-line block ×6, first 2 shown]
	v_add_f64 v[108:109], v[12:13], v[24:25]
	v_mul_f64 v[110:111], v[84:85], s[30:31]
	v_mul_f64 v[112:113], v[84:85], s[34:35]
	;; [unrolled: 1-line block ×6, first 2 shown]
	v_add_f64 v[50:51], v[20:21], v[50:51]
	v_add_f64 v[62:63], v[82:83], v[62:63]
	;; [unrolled: 1-line block ×13, first 2 shown]
	v_fma_f64 v[64:65], v[108:109], s[22:23], v[110:111]
	v_fma_f64 v[66:67], v[108:109], s[4:5], v[112:113]
	v_fma_f64 v[68:69], v[108:109], s[4:5], -v[112:113]
	v_fma_f64 v[74:75], v[108:109], s[20:21], v[114:115]
	v_fma_f64 v[88:89], v[108:109], s[6:7], v[116:117]
	v_fma_f64 v[96:97], v[108:109], s[6:7], -v[116:117]
	;; [unrolled: 3-line block ×3, first 2 shown]
	v_fma_f64 v[102:103], v[108:109], s[18:19], -v[118:119]
	v_fma_f64 v[104:105], v[108:109], s[20:21], -v[114:115]
	;; [unrolled: 1-line block ×3, first 2 shown]
	v_add_f64 v[108:109], v[8:9], v[50:51]
	v_add_f64 v[64:65], v[64:65], v[62:63]
	;; [unrolled: 1-line block ×14, first 2 shown]
	v_mul_u32_u24_e32 v1, 0xd0, v56
	v_mad_u32_u24 v0, 0x68, v87, 0
	v_lshlrev_b32_e32 v88, 3, v87
                                        ; implicit-def: $vgpr84_vgpr85
                                        ; implicit-def: $vgpr56_vgpr57
	v_lshlrev_b32_e32 v89, 3, v1
	v_lshl_add_u32 v90, v1, 3, v0
	ds_write2_b64 v90, v[78:79], v[68:69] offset0:2 offset1:3
	ds_write2_b64 v90, v[76:77], v[74:75] offset0:4 offset1:5
	;; [unrolled: 1-line block ×5, first 2 shown]
	ds_write_b64 v90, v[50:51] offset:96
	ds_write2_b64 v90, v[62:63], v[64:65] offset1:1
	s_waitcnt lgkmcnt(0)
	s_barrier
	buffer_gl0_inv
	s_and_saveexec_b32 s1, s0
	s_cbranch_execz .LBB0_13
; %bb.12:
	v_mul_i32_i24_e32 v1, 0xffffffa0, v87
	v_add3_u32 v0, v0, v1, v89
	v_add3_u32 v1, 0, v89, v88
	ds_read2_b64 v[64:67], v0 offset0:13 offset1:26
	ds_read2_b64 v[68:71], v0 offset0:39 offset1:52
	;; [unrolled: 1-line block ×7, first 2 shown]
	ds_read_b64 v[62:63], v1
	ds_read_b64 v[84:85], v0 offset:1560
	s_waitcnt lgkmcnt(8)
	v_mov_b32_e32 v79, v67
	s_waitcnt lgkmcnt(7)
	v_mov_b32_e32 v77, v71
	;; [unrolled: 2-line block ×3, first 2 shown]
	v_mov_b32_e32 v78, v66
	v_mov_b32_e32 v76, v70
	;; [unrolled: 1-line block ×3, first 2 shown]
	s_waitcnt lgkmcnt(5)
	v_mov_b32_e32 v72, v91
	v_mov_b32_e32 v66, v93
	s_waitcnt lgkmcnt(4)
	v_mov_b32_e32 v80, v97
	v_mov_b32_e32 v70, v95
	;; [unrolled: 1-line block ×6, first 2 shown]
.LBB0_13:
	s_or_b32 exec_lo, exec_lo, s1
	v_add_f64 v[0:1], v[54:55], v[2:3]
	v_add_f64 v[4:5], v[52:53], -v[4:5]
	v_add_f64 v[8:9], v[44:45], -v[8:9]
	v_add_f64 v[44:45], v[54:55], v[6:7]
	v_add_f64 v[20:21], v[40:41], -v[20:21]
	v_add_f64 v[40:41], v[46:47], v[10:11]
	v_add_f64 v[12:13], v[24:25], -v[12:13]
	v_add_f64 v[28:29], v[36:37], -v[28:29]
	v_add_f64 v[36:37], v[18:19], v[34:35]
	v_add_f64 v[16:17], v[16:17], -v[32:33]
	v_add_f64 v[32:33], v[14:15], v[26:27]
	v_add_f64 v[52:53], v[38:39], v[30:31]
	s_waitcnt lgkmcnt(0)
	s_barrier
	buffer_gl0_inv
	v_add_f64 v[0:1], v[46:47], v[0:1]
	v_add_f64 v[46:47], v[42:43], v[22:23]
	v_mul_f64 v[24:25], v[4:5], s[14:15]
	v_mul_f64 v[54:55], v[4:5], s[12:13]
	v_mul_f64 v[91:92], v[4:5], s[24:25]
	v_mul_f64 v[93:94], v[4:5], s[28:29]
	v_mul_f64 v[95:96], v[8:9], s[10:11]
	v_mul_f64 v[97:98], v[8:9], s[24:25]
	v_mul_f64 v[99:100], v[8:9], s[30:31]
	v_mul_f64 v[101:102], v[8:9], s[38:39]
	v_mul_f64 v[103:104], v[8:9], s[26:27]
	v_mul_f64 v[8:9], v[8:9], s[34:35]
	v_mul_f64 v[105:106], v[20:21], s[12:13]
	v_mul_f64 v[107:108], v[20:21], s[30:31]
	v_mul_f64 v[109:110], v[20:21], s[42:43]
	v_mul_f64 v[111:112], v[20:21], s[34:35]
	v_mul_f64 v[113:114], v[20:21], s[10:11]
	v_mul_f64 v[20:21], v[20:21], s[28:29]
	v_mul_f64 v[115:116], v[28:29], s[24:25]
	v_mul_f64 v[117:118], v[28:29], s[38:39]
	v_mul_f64 v[119:120], v[28:29], s[34:35]
	v_mul_f64 v[121:122], v[28:29], s[40:41]
	v_add_f64 v[0:1], v[42:43], v[0:1]
	v_mul_f64 v[42:43], v[4:5], s[10:11]
	v_mul_f64 v[4:5], v[4:5], s[30:31]
	v_fma_f64 v[143:144], v[44:45], s[4:5], -v[24:25]
	v_fma_f64 v[24:25], v[44:45], s[4:5], v[24:25]
	v_fma_f64 v[147:148], v[44:45], s[16:17], -v[54:55]
	v_fma_f64 v[54:55], v[44:45], s[16:17], v[54:55]
	;; [unrolled: 2-line block ×8, first 2 shown]
	v_fma_f64 v[163:164], v[46:47], s[22:23], -v[107:108]
	v_fma_f64 v[165:166], v[46:47], s[4:5], -v[111:112]
	v_fma_f64 v[111:112], v[46:47], s[4:5], v[111:112]
	v_add_f64 v[0:1], v[38:39], v[0:1]
	v_fma_f64 v[145:146], v[44:45], s[6:7], -v[42:43]
	v_fma_f64 v[42:43], v[44:45], s[6:7], v[42:43]
	v_fma_f64 v[151:152], v[44:45], s[22:23], -v[4:5]
	v_fma_f64 v[4:5], v[44:45], s[22:23], v[4:5]
	;; [unrolled: 2-line block ×4, first 2 shown]
	v_add_f64 v[93:94], v[93:94], v[2:3]
	v_add_f64 v[54:55], v[54:55], v[2:3]
	v_mul_f64 v[38:39], v[28:29], s[12:13]
	v_mul_f64 v[28:29], v[28:29], s[36:37]
	;; [unrolled: 1-line block ×8, first 2 shown]
	v_fma_f64 v[173:174], v[52:53], s[22:23], -v[121:122]
	v_mul_f64 v[133:134], v[12:13], s[30:31]
	v_mul_f64 v[135:136], v[12:13], s[34:35]
	v_add_f64 v[0:1], v[18:19], v[0:1]
	v_fma_f64 v[18:19], v[44:45], s[18:19], -v[91:92]
	v_fma_f64 v[91:92], v[44:45], s[18:19], v[91:92]
	v_fma_f64 v[44:45], v[40:41], s[6:7], -v[95:96]
	v_fma_f64 v[95:96], v[40:41], s[6:7], v[95:96]
	;; [unrolled: 2-line block ×3, first 2 shown]
	v_add_f64 v[42:43], v[42:43], v[2:3]
	v_add_f64 v[4:5], v[4:5], v[2:3]
	v_mul_f64 v[137:138], v[12:13], s[28:29]
	v_add_f64 v[54:55], v[99:100], v[54:55]
	v_fma_f64 v[171:172], v[52:53], s[16:17], -v[38:39]
	v_fma_f64 v[38:39], v[52:53], s[16:17], v[38:39]
	v_mul_f64 v[139:140], v[12:13], s[36:37]
	v_mul_f64 v[141:142], v[12:13], s[24:25]
	;; [unrolled: 1-line block ×3, first 2 shown]
	v_fma_f64 v[99:100], v[36:37], s[16:17], -v[125:126]
	v_add_f64 v[0:1], v[26:27], v[0:1]
	v_fma_f64 v[26:27], v[46:47], s[22:23], v[107:108]
	v_fma_f64 v[107:108], v[46:47], s[18:19], -v[109:110]
	v_fma_f64 v[109:110], v[46:47], s[18:19], v[109:110]
	v_add_f64 v[46:47], v[143:144], v[2:3]
	v_add_f64 v[143:144], v[145:146], v[2:3]
	;; [unrolled: 1-line block ×11, first 2 shown]
	v_fma_f64 v[24:25], v[52:53], s[18:19], v[115:116]
	v_fma_f64 v[151:152], v[52:53], s[4:5], -v[119:120]
	v_fma_f64 v[119:120], v[52:53], s[4:5], v[119:120]
	v_fma_f64 v[93:94], v[52:53], s[6:7], -v[28:29]
	v_fma_f64 v[28:29], v[52:53], s[6:7], v[28:29]
	v_fma_f64 v[103:104], v[36:37], s[16:17], v[125:126]
	v_add_f64 v[0:1], v[14:15], v[0:1]
	v_fma_f64 v[14:15], v[52:53], s[18:19], -v[115:116]
	v_fma_f64 v[115:116], v[52:53], s[20:21], -v[117:118]
	v_fma_f64 v[117:118], v[52:53], s[20:21], v[117:118]
	v_add_f64 v[44:45], v[44:45], v[46:47]
	v_add_f64 v[46:47], v[153:154], v[143:144]
	;; [unrolled: 1-line block ×12, first 2 shown]
	v_fma_f64 v[95:96], v[36:37], s[20:21], v[123:124]
	v_fma_f64 v[54:55], v[36:37], s[22:23], v[129:130]
	;; [unrolled: 1-line block ×3, first 2 shown]
	v_fma_f64 v[113:114], v[32:33], s[18:19], -v[141:142]
	v_add_f64 v[0:1], v[34:35], v[0:1]
	v_fma_f64 v[34:35], v[52:53], s[22:23], v[121:122]
	v_fma_f64 v[52:53], v[36:37], s[20:21], -v[123:124]
	v_fma_f64 v[121:122], v[36:37], s[6:7], -v[127:128]
	v_add_f64 v[40:41], v[40:41], v[44:45]
	v_add_f64 v[44:45], v[163:164], v[46:47]
	;; [unrolled: 1-line block ×8, first 2 shown]
	v_fma_f64 v[123:124], v[36:37], s[6:7], v[127:128]
	v_fma_f64 v[101:102], v[36:37], s[4:5], -v[131:132]
	v_fma_f64 v[105:106], v[36:37], s[4:5], v[131:132]
	v_fma_f64 v[107:108], v[36:37], s[18:19], -v[16:17]
	v_fma_f64 v[16:17], v[36:37], s[18:19], v[16:17]
	v_add_f64 v[26:27], v[117:118], v[26:27]
	v_add_f64 v[4:5], v[28:29], v[4:5]
	;; [unrolled: 1-line block ×3, first 2 shown]
	v_fma_f64 v[111:112], v[32:33], s[4:5], -v[135:136]
	v_fma_f64 v[117:118], v[32:33], s[16:17], -v[12:13]
	v_add_f64 v[0:1], v[30:31], v[0:1]
	v_fma_f64 v[30:31], v[36:37], s[22:23], -v[129:130]
	v_add_f64 v[8:9], v[34:35], v[8:9]
	;; [unrolled: 2-line block ×3, first 2 shown]
	v_add_f64 v[40:41], v[115:116], v[44:45]
	v_add_f64 v[42:43], v[151:152], v[42:43]
	v_add_f64 v[18:19], v[171:172], v[18:19]
	v_add_f64 v[38:39], v[38:39], v[46:47]
	v_add_f64 v[44:45], v[173:174], v[91:92]
	v_add_f64 v[46:47], v[93:94], v[97:98]
	v_add_f64 v[2:3], v[24:25], v[2:3]
	v_fma_f64 v[24:25], v[32:33], s[4:5], v[135:136]
	v_fma_f64 v[34:35], v[32:33], s[20:21], -v[137:138]
	v_fma_f64 v[91:92], v[32:33], s[20:21], v[137:138]
	v_fma_f64 v[93:94], v[32:33], s[6:7], -v[139:140]
	v_fma_f64 v[97:98], v[32:33], s[6:7], v[139:140]
	v_fma_f64 v[115:116], v[32:33], s[18:19], v[141:142]
	;; [unrolled: 1-line block ×3, first 2 shown]
	v_add_f64 v[26:27], v[103:104], v[26:27]
	v_add_f64 v[4:5], v[16:17], v[4:5]
	;; [unrolled: 1-line block ×26, first 2 shown]
                                        ; implicit-def: $vgpr4_vgpr5
                                        ; implicit-def: $vgpr30_vgpr31
	v_add_f64 v[8:9], v[6:7], v[46:47]
	ds_write2_b64 v90, v[28:29], v[20:21] offset0:2 offset1:3
	ds_write2_b64 v90, v[10:11], v[12:13] offset0:4 offset1:5
	;; [unrolled: 1-line block ×5, first 2 shown]
	ds_write_b64 v90, v[2:3] offset:96
	ds_write2_b64 v90, v[8:9], v[22:23] offset1:1
	s_waitcnt lgkmcnt(0)
	s_barrier
	buffer_gl0_inv
	s_and_saveexec_b32 s1, s0
	s_cbranch_execnz .LBB0_16
; %bb.14:
	s_or_b32 exec_lo, exec_lo, s1
	s_and_b32 s0, vcc_lo, s0
	s_and_saveexec_b32 s1, s0
	s_cbranch_execnz .LBB0_17
.LBB0_15:
	s_endpgm
.LBB0_16:
	v_add3_u32 v14, 0, v88, v89
	v_add3_u32 v8, 0, v89, v88
	ds_read2_b64 v[10:13], v14 offset0:91 offset1:104
	ds_read2_b64 v[18:21], v14 offset0:117 offset1:130
	;; [unrolled: 1-line block ×7, first 2 shown]
	ds_read_b64 v[8:9], v8
	ds_read_b64 v[30:31], v14 offset:1560
	s_waitcnt lgkmcnt(8)
	v_mov_b32_e32 v17, v13
	s_waitcnt lgkmcnt(7)
	v_mov_b32_e32 v25, v21
	v_mov_b32_e32 v15, v11
	v_mov_b32_e32 v16, v12
	v_mov_b32_e32 v24, v20
	v_mov_b32_e32 v14, v10
	s_waitcnt lgkmcnt(5)
	v_mov_b32_e32 v26, v34
	v_mov_b32_e32 v12, v32
	s_waitcnt lgkmcnt(4)
	v_mov_b32_e32 v10, v38
	v_mov_b32_e32 v20, v36
	;; [unrolled: 3-line block ×3, first 2 shown]
	v_mov_b32_e32 v27, v35
	v_mov_b32_e32 v13, v33
	;; [unrolled: 1-line block ×6, first 2 shown]
	s_or_b32 exec_lo, exec_lo, s1
	s_and_b32 s0, vcc_lo, s0
	s_and_saveexec_b32 s1, s0
	s_cbranch_execz .LBB0_15
.LBB0_17:
	v_mul_u32_u24_e32 v32, 15, v87
	s_mov_b32 s0, 0x667f3bcd
	s_mov_b32 s1, 0x3fe6a09e
	;; [unrolled: 1-line block ×4, first 2 shown]
	v_lshlrev_b32_e32 v123, 4, v32
	s_mov_b32 s6, 0xcf328d46
	s_mov_b32 s7, 0x3fed906b
	;; [unrolled: 1-line block ×4, first 2 shown]
	s_clause 0xe
	global_load_dwordx4 v[32:35], v123, s[8:9] offset:16
	global_load_dwordx4 v[36:39], v123, s[8:9] offset:144
	;; [unrolled: 1-line block ×7, first 2 shown]
	global_load_dwordx4 v[95:98], v123, s[8:9]
	global_load_dwordx4 v[99:102], v123, s[8:9] offset:128
	global_load_dwordx4 v[103:106], v123, s[8:9] offset:64
	;; [unrolled: 1-line block ×7, first 2 shown]
	s_mov_b32 s8, 0xa6aea964
	s_mov_b32 s9, 0xbfd87de2
	;; [unrolled: 1-line block ×4, first 2 shown]
	s_waitcnt vmcnt(14)
	v_mul_f64 v[127:128], v[78:79], v[34:35]
	v_mul_f64 v[34:35], v[28:29], v[34:35]
	s_waitcnt vmcnt(13)
	v_mul_f64 v[129:130], v[80:81], v[38:39]
	v_mul_f64 v[38:39], v[24:25], v[38:39]
	s_waitcnt vmcnt(12)
	v_mul_f64 v[131:132], v[26:27], v[42:43]
	v_mul_f64 v[42:43], v[82:83], v[42:43]
	s_waitcnt vmcnt(11) lgkmcnt(2)
	v_mul_f64 v[133:134], v[6:7], v[46:47]
	s_waitcnt vmcnt(10)
	v_mul_f64 v[135:136], v[66:67], v[54:55]
	s_waitcnt vmcnt(9)
	v_mul_f64 v[137:138], v[10:11], v[89:90]
	v_mul_f64 v[46:47], v[58:59], v[46:47]
	s_waitcnt vmcnt(8)
	v_mul_f64 v[139:140], v[2:3], v[93:94]
	s_waitcnt vmcnt(7)
	;; [unrolled: 2-line block ×8, first 2 shown]
	v_mul_f64 v[153:154], v[14:15], v[121:122]
	s_waitcnt vmcnt(0) lgkmcnt(0)
	v_mul_f64 v[155:156], v[30:31], v[125:126]
	v_mul_f64 v[113:114], v[20:21], v[113:114]
	;; [unrolled: 1-line block ×10, first 2 shown]
	v_fma_f64 v[28:29], v[28:29], v[32:33], -v[127:128]
	v_mul_f64 v[89:90], v[76:77], v[89:90]
	v_fma_f64 v[32:33], v[78:79], v[32:33], v[34:35]
	v_mul_f64 v[34:35], v[16:17], v[54:55]
	v_fma_f64 v[24:25], v[24:25], v[36:37], -v[129:130]
	v_fma_f64 v[36:37], v[80:81], v[36:37], v[38:39]
	v_fma_f64 v[38:39], v[82:83], v[40:41], v[131:132]
	v_fma_f64 v[26:27], v[26:27], v[40:41], -v[42:43]
	v_fma_f64 v[40:41], v[58:59], v[44:45], v[133:134]
	v_fma_f64 v[6:7], v[6:7], v[44:45], -v[46:47]
	v_fma_f64 v[42:43], v[50:51], v[91:92], v[139:140]
	v_fma_f64 v[44:45], v[76:77], v[87:88], v[137:138]
	v_fma_f64 v[16:17], v[16:17], v[52:53], -v[135:136]
	v_fma_f64 v[22:23], v[22:23], v[95:96], -v[141:142]
	v_fma_f64 v[18:19], v[18:19], v[99:100], -v[143:144]
	v_fma_f64 v[46:47], v[74:75], v[103:104], v[145:146]
	v_fma_f64 v[50:51], v[56:57], v[107:108], v[147:148]
	v_fma_f64 v[20:21], v[20:21], v[111:112], -v[149:150]
	v_fma_f64 v[0:1], v[0:1], v[115:116], -v[151:152]
	v_fma_f64 v[54:55], v[72:73], v[119:120], v[153:154]
	v_fma_f64 v[56:57], v[84:85], v[123:124], v[155:156]
	;; [unrolled: 1-line block ×4, first 2 shown]
	v_fma_f64 v[14:15], v[14:15], v[119:120], -v[121:122]
	v_fma_f64 v[30:31], v[30:31], v[123:124], -v[125:126]
	v_fma_f64 v[64:65], v[64:65], v[95:96], v[97:98]
	v_fma_f64 v[68:69], v[70:71], v[99:100], v[101:102]
	v_fma_f64 v[12:13], v[12:13], v[103:104], -v[105:106]
	v_fma_f64 v[4:5], v[4:5], v[107:108], -v[109:110]
	;; [unrolled: 1-line block ×4, first 2 shown]
	v_fma_f64 v[34:35], v[66:67], v[52:53], v[34:35]
	v_add_f64 v[24:25], v[28:29], -v[24:25]
	v_add_f64 v[40:41], v[38:39], -v[40:41]
	;; [unrolled: 1-line block ×16, first 2 shown]
	v_fma_f64 v[28:29], v[28:29], 2.0, -v[24:25]
	v_add_f64 v[66:67], v[24:25], -v[40:41]
	v_fma_f64 v[8:9], v[8:9], 2.0, -v[16:17]
	v_add_f64 v[68:69], v[16:17], -v[42:43]
	v_add_f64 v[70:71], v[36:37], v[6:7]
	v_fma_f64 v[22:23], v[22:23], 2.0, -v[18:19]
	v_add_f64 v[72:73], v[18:19], -v[50:51]
	v_fma_f64 v[6:7], v[26:27], 2.0, -v[6:7]
	v_fma_f64 v[26:27], v[46:47], 2.0, -v[50:51]
	v_add_f64 v[74:75], v[0:1], -v[52:53]
	v_fma_f64 v[46:47], v[54:55], 2.0, -v[52:53]
	v_add_f64 v[76:77], v[48:49], v[30:31]
	v_fma_f64 v[14:15], v[14:15], 2.0, -v[30:31]
	v_fma_f64 v[30:31], v[44:45], 2.0, -v[42:43]
	v_add_f64 v[78:79], v[56:57], v[4:5]
	v_fma_f64 v[4:5], v[12:13], 2.0, -v[4:5]
	;; [unrolled: 3-line block ×3, first 2 shown]
	v_fma_f64 v[10:11], v[32:33], 2.0, -v[36:37]
	v_fma_f64 v[32:33], v[38:39], 2.0, -v[40:41]
	v_fma_f64 v[38:39], v[58:59], 2.0, -v[48:49]
	v_fma_f64 v[40:41], v[64:65], 2.0, -v[56:57]
	v_fma_f64 v[20:21], v[62:63], 2.0, -v[34:35]
	v_fma_f64 v[16:17], v[16:17], 2.0, -v[68:69]
	v_fma_f64 v[24:25], v[24:25], 2.0, -v[66:67]
	v_fma_f64 v[36:37], v[36:37], 2.0, -v[70:71]
	v_fma_f64 v[18:19], v[18:19], 2.0, -v[72:73]
	v_fma_f64 v[0:1], v[0:1], 2.0, -v[74:75]
	v_add_f64 v[6:7], v[28:29], -v[6:7]
	v_fma_f64 v[50:51], v[74:75], s[0:1], v[72:73]
	v_fma_f64 v[42:43], v[48:49], 2.0, -v[76:77]
	v_fma_f64 v[48:49], v[66:67], s[0:1], v[68:69]
	v_fma_f64 v[44:45], v[56:57], 2.0, -v[78:79]
	v_fma_f64 v[52:53], v[76:77], s[0:1], v[78:79]
	v_add_f64 v[4:5], v[22:23], -v[4:5]
	v_fma_f64 v[34:35], v[34:35], 2.0, -v[80:81]
	v_add_f64 v[2:3], v[8:9], -v[2:3]
	v_fma_f64 v[54:55], v[70:71], s[0:1], v[80:81]
	v_add_f64 v[32:33], v[10:11], -v[32:33]
	v_add_f64 v[46:47], v[38:39], -v[46:47]
	;; [unrolled: 1-line block ×5, first 2 shown]
	v_fma_f64 v[56:57], v[24:25], s[4:5], v[16:17]
	v_fma_f64 v[58:59], v[0:1], s[4:5], v[18:19]
	v_fma_f64 v[28:29], v[28:29], 2.0, -v[6:7]
	v_fma_f64 v[50:51], v[76:77], s[4:5], v[50:51]
	v_fma_f64 v[48:49], v[70:71], s[4:5], v[48:49]
	;; [unrolled: 1-line block ×5, first 2 shown]
	v_fma_f64 v[8:9], v[8:9], 2.0, -v[2:3]
	v_fma_f64 v[54:55], v[66:67], s[0:1], v[54:55]
	v_add_f64 v[66:67], v[2:3], -v[32:33]
	v_fma_f64 v[38:39], v[38:39], 2.0, -v[46:47]
	v_fma_f64 v[40:41], v[40:41], 2.0, -v[26:27]
	v_add_f64 v[46:47], v[4:5], -v[46:47]
	v_add_f64 v[74:75], v[6:7], v[30:31]
	v_fma_f64 v[6:7], v[20:21], 2.0, -v[30:31]
	v_fma_f64 v[10:11], v[10:11], 2.0, -v[32:33]
	;; [unrolled: 1-line block ×4, first 2 shown]
	v_add_f64 v[70:71], v[26:27], v[14:15]
	v_fma_f64 v[56:57], v[36:37], s[4:5], v[56:57]
	v_fma_f64 v[22:23], v[42:43], s[4:5], v[58:59]
	;; [unrolled: 1-line block ×3, first 2 shown]
	v_fma_f64 v[62:63], v[68:69], 2.0, -v[48:49]
	v_fma_f64 v[32:33], v[78:79], 2.0, -v[52:53]
	v_fma_f64 v[58:59], v[24:25], s[0:1], v[64:65]
	v_add_f64 v[36:37], v[8:9], -v[28:29]
	v_fma_f64 v[28:29], v[72:73], 2.0, -v[50:51]
	v_fma_f64 v[68:69], v[2:3], 2.0, -v[66:67]
	;; [unrolled: 1-line block ×3, first 2 shown]
	v_add_f64 v[24:25], v[40:41], -v[38:39]
	v_fma_f64 v[38:39], v[4:5], 2.0, -v[46:47]
	v_fma_f64 v[72:73], v[30:31], 2.0, -v[74:75]
	v_fma_f64 v[0:1], v[50:51], s[6:7], v[48:49]
	v_add_f64 v[76:77], v[6:7], -v[10:11]
	v_fma_f64 v[10:11], v[46:47], s[0:1], v[66:67]
	v_add_f64 v[12:13], v[20:21], -v[12:13]
	v_fma_f64 v[26:27], v[26:27], 2.0, -v[70:71]
	v_fma_f64 v[78:79], v[16:17], 2.0, -v[56:57]
	;; [unrolled: 1-line block ×3, first 2 shown]
	v_fma_f64 v[4:5], v[52:53], s[6:7], v[54:55]
	v_fma_f64 v[16:17], v[70:71], s[0:1], v[74:75]
	;; [unrolled: 1-line block ×3, first 2 shown]
	v_fma_f64 v[30:31], v[44:45], 2.0, -v[14:15]
	v_fma_f64 v[80:81], v[34:35], 2.0, -v[58:59]
	v_fma_f64 v[34:35], v[14:15], s[10:11], v[58:59]
	v_fma_f64 v[89:90], v[8:9], 2.0, -v[36:37]
	v_fma_f64 v[44:45], v[28:29], s[8:9], v[62:63]
	v_fma_f64 v[82:83], v[32:33], s[8:9], v[64:65]
	v_fma_f64 v[40:41], v[40:41], 2.0, -v[24:25]
	v_fma_f64 v[84:85], v[38:39], s[4:5], v[68:69]
	v_fma_f64 v[2:3], v[52:53], s[8:9], v[0:1]
	v_fma_f64 v[93:94], v[6:7], 2.0, -v[76:77]
	v_fma_f64 v[6:7], v[70:71], s[4:5], v[10:11]
	v_fma_f64 v[91:92], v[20:21], 2.0, -v[12:13]
	v_fma_f64 v[87:88], v[26:27], s[4:5], v[72:73]
	v_add_f64 v[10:11], v[36:37], -v[24:25]
	v_fma_f64 v[95:96], v[42:43], s[12:13], v[78:79]
	v_add_f64 v[8:9], v[76:77], v[12:13]
	v_fma_f64 v[0:1], v[50:51], s[10:11], v[4:5]
	v_fma_f64 v[4:5], v[46:47], s[0:1], v[16:17]
	;; [unrolled: 1-line block ×7, first 2 shown]
	v_add_co_u32 v32, vcc_lo, s2, v60
	v_fma_f64 v[22:23], v[26:27], s[4:5], v[84:85]
	v_add_co_ci_u32_e32 v33, vcc_lo, s3, v61, vcc_lo
	v_add_f64 v[24:25], v[93:94], -v[40:41]
	v_add_f64 v[26:27], v[89:90], -v[91:92]
	v_fma_f64 v[20:21], v[38:39], s[0:1], v[87:88]
	v_add_co_u32 v70, vcc_lo, v32, v86
	v_fma_f64 v[30:31], v[30:31], s[8:9], v[95:96]
	v_fma_f64 v[40:41], v[76:77], 2.0, -v[8:9]
	v_fma_f64 v[38:39], v[66:67], 2.0, -v[6:7]
	v_add_co_ci_u32_e32 v71, vcc_lo, 0, v33, vcc_lo
	v_fma_f64 v[34:35], v[48:49], 2.0, -v[2:3]
	v_fma_f64 v[32:33], v[54:55], 2.0, -v[0:1]
	v_fma_f64 v[28:29], v[42:43], s[10:11], v[97:98]
	v_fma_f64 v[42:43], v[36:37], 2.0, -v[10:11]
	v_fma_f64 v[36:37], v[74:75], 2.0, -v[4:5]
	;; [unrolled: 1-line block ×7, first 2 shown]
	v_add_co_u32 v64, vcc_lo, 0x800, v70
	v_fma_f64 v[56:57], v[93:94], 2.0, -v[24:25]
	v_fma_f64 v[58:59], v[89:90], 2.0, -v[26:27]
	;; [unrolled: 1-line block ×3, first 2 shown]
	v_add_co_ci_u32_e32 v65, vcc_lo, 0, v71, vcc_lo
	v_fma_f64 v[62:63], v[78:79], 2.0, -v[30:31]
	v_fma_f64 v[60:61], v[80:81], 2.0, -v[28:29]
	global_store_dwordx4 v[64:65], v[8:11], off offset:448
	global_store_dwordx4 v[64:65], v[4:7], off offset:864
	global_store_dwordx4 v[70:71], v[40:43], off offset:832
	global_store_dwordx4 v[70:71], v[36:39], off offset:1248
	global_store_dwordx4 v[70:71], v[32:35], off offset:1456
	global_store_dwordx4 v[70:71], v[24:27], off offset:1664
	global_store_dwordx4 v[64:65], v[20:23], off offset:32
	global_store_dwordx4 v[64:65], v[16:19], off offset:240
	global_store_dwordx4 v[64:65], v[12:15], off offset:656
	global_store_dwordx4 v[70:71], v[56:59], off
	global_store_dwordx4 v[70:71], v[52:55], off offset:416
	global_store_dwordx4 v[70:71], v[48:51], off offset:624
	;; [unrolled: 1-line block ×6, first 2 shown]
	s_endpgm
	.section	.rodata,"a",@progbits
	.p2align	6, 0x0
	.amdhsa_kernel fft_rtc_back_len208_factors_13_16_wgs_64_tpt_16_halfLds_dp_ip_CI_unitstride_sbrr_dirReg
		.amdhsa_group_segment_fixed_size 0
		.amdhsa_private_segment_fixed_size 0
		.amdhsa_kernarg_size 88
		.amdhsa_user_sgpr_count 6
		.amdhsa_user_sgpr_private_segment_buffer 1
		.amdhsa_user_sgpr_dispatch_ptr 0
		.amdhsa_user_sgpr_queue_ptr 0
		.amdhsa_user_sgpr_kernarg_segment_ptr 1
		.amdhsa_user_sgpr_dispatch_id 0
		.amdhsa_user_sgpr_flat_scratch_init 0
		.amdhsa_user_sgpr_private_segment_size 0
		.amdhsa_wavefront_size32 1
		.amdhsa_uses_dynamic_stack 0
		.amdhsa_system_sgpr_private_segment_wavefront_offset 0
		.amdhsa_system_sgpr_workgroup_id_x 1
		.amdhsa_system_sgpr_workgroup_id_y 0
		.amdhsa_system_sgpr_workgroup_id_z 0
		.amdhsa_system_sgpr_workgroup_info 0
		.amdhsa_system_vgpr_workitem_id 0
		.amdhsa_next_free_vgpr 175
		.amdhsa_next_free_sgpr 44
		.amdhsa_reserve_vcc 1
		.amdhsa_reserve_flat_scratch 0
		.amdhsa_float_round_mode_32 0
		.amdhsa_float_round_mode_16_64 0
		.amdhsa_float_denorm_mode_32 3
		.amdhsa_float_denorm_mode_16_64 3
		.amdhsa_dx10_clamp 1
		.amdhsa_ieee_mode 1
		.amdhsa_fp16_overflow 0
		.amdhsa_workgroup_processor_mode 1
		.amdhsa_memory_ordered 1
		.amdhsa_forward_progress 0
		.amdhsa_shared_vgpr_count 0
		.amdhsa_exception_fp_ieee_invalid_op 0
		.amdhsa_exception_fp_denorm_src 0
		.amdhsa_exception_fp_ieee_div_zero 0
		.amdhsa_exception_fp_ieee_overflow 0
		.amdhsa_exception_fp_ieee_underflow 0
		.amdhsa_exception_fp_ieee_inexact 0
		.amdhsa_exception_int_div_zero 0
	.end_amdhsa_kernel
	.text
.Lfunc_end0:
	.size	fft_rtc_back_len208_factors_13_16_wgs_64_tpt_16_halfLds_dp_ip_CI_unitstride_sbrr_dirReg, .Lfunc_end0-fft_rtc_back_len208_factors_13_16_wgs_64_tpt_16_halfLds_dp_ip_CI_unitstride_sbrr_dirReg
                                        ; -- End function
	.section	.AMDGPU.csdata,"",@progbits
; Kernel info:
; codeLenInByte = 7656
; NumSgprs: 46
; NumVgprs: 175
; ScratchSize: 0
; MemoryBound: 1
; FloatMode: 240
; IeeeMode: 1
; LDSByteSize: 0 bytes/workgroup (compile time only)
; SGPRBlocks: 5
; VGPRBlocks: 21
; NumSGPRsForWavesPerEU: 46
; NumVGPRsForWavesPerEU: 175
; Occupancy: 5
; WaveLimiterHint : 1
; COMPUTE_PGM_RSRC2:SCRATCH_EN: 0
; COMPUTE_PGM_RSRC2:USER_SGPR: 6
; COMPUTE_PGM_RSRC2:TRAP_HANDLER: 0
; COMPUTE_PGM_RSRC2:TGID_X_EN: 1
; COMPUTE_PGM_RSRC2:TGID_Y_EN: 0
; COMPUTE_PGM_RSRC2:TGID_Z_EN: 0
; COMPUTE_PGM_RSRC2:TIDIG_COMP_CNT: 0
	.text
	.p2alignl 6, 3214868480
	.fill 48, 4, 3214868480
	.type	__hip_cuid_dafce4e67a09fc83,@object ; @__hip_cuid_dafce4e67a09fc83
	.section	.bss,"aw",@nobits
	.globl	__hip_cuid_dafce4e67a09fc83
__hip_cuid_dafce4e67a09fc83:
	.byte	0                               ; 0x0
	.size	__hip_cuid_dafce4e67a09fc83, 1

	.ident	"AMD clang version 19.0.0git (https://github.com/RadeonOpenCompute/llvm-project roc-6.4.0 25133 c7fe45cf4b819c5991fe208aaa96edf142730f1d)"
	.section	".note.GNU-stack","",@progbits
	.addrsig
	.addrsig_sym __hip_cuid_dafce4e67a09fc83
	.amdgpu_metadata
---
amdhsa.kernels:
  - .args:
      - .actual_access:  read_only
        .address_space:  global
        .offset:         0
        .size:           8
        .value_kind:     global_buffer
      - .offset:         8
        .size:           8
        .value_kind:     by_value
      - .actual_access:  read_only
        .address_space:  global
        .offset:         16
        .size:           8
        .value_kind:     global_buffer
      - .actual_access:  read_only
        .address_space:  global
        .offset:         24
        .size:           8
        .value_kind:     global_buffer
      - .offset:         32
        .size:           8
        .value_kind:     by_value
      - .actual_access:  read_only
        .address_space:  global
        .offset:         40
        .size:           8
        .value_kind:     global_buffer
      - .actual_access:  read_only
        .address_space:  global
        .offset:         48
        .size:           8
        .value_kind:     global_buffer
      - .offset:         56
        .size:           4
        .value_kind:     by_value
      - .actual_access:  read_only
        .address_space:  global
        .offset:         64
        .size:           8
        .value_kind:     global_buffer
      - .actual_access:  read_only
        .address_space:  global
        .offset:         72
        .size:           8
        .value_kind:     global_buffer
      - .address_space:  global
        .offset:         80
        .size:           8
        .value_kind:     global_buffer
    .group_segment_fixed_size: 0
    .kernarg_segment_align: 8
    .kernarg_segment_size: 88
    .language:       OpenCL C
    .language_version:
      - 2
      - 0
    .max_flat_workgroup_size: 64
    .name:           fft_rtc_back_len208_factors_13_16_wgs_64_tpt_16_halfLds_dp_ip_CI_unitstride_sbrr_dirReg
    .private_segment_fixed_size: 0
    .sgpr_count:     46
    .sgpr_spill_count: 0
    .symbol:         fft_rtc_back_len208_factors_13_16_wgs_64_tpt_16_halfLds_dp_ip_CI_unitstride_sbrr_dirReg.kd
    .uniform_work_group_size: 1
    .uses_dynamic_stack: false
    .vgpr_count:     175
    .vgpr_spill_count: 0
    .wavefront_size: 32
    .workgroup_processor_mode: 1
amdhsa.target:   amdgcn-amd-amdhsa--gfx1030
amdhsa.version:
  - 1
  - 2
...

	.end_amdgpu_metadata
